;; amdgpu-corpus repo=ROCm/rocFFT kind=compiled arch=gfx1030 opt=O3
	.text
	.amdgcn_target "amdgcn-amd-amdhsa--gfx1030"
	.amdhsa_code_object_version 6
	.protected	fft_rtc_back_len1452_factors_11_3_11_4_wgs_132_tpt_132_halfLds_dp_op_CI_CI_unitstride_sbrr_C2R_dirReg ; -- Begin function fft_rtc_back_len1452_factors_11_3_11_4_wgs_132_tpt_132_halfLds_dp_op_CI_CI_unitstride_sbrr_C2R_dirReg
	.globl	fft_rtc_back_len1452_factors_11_3_11_4_wgs_132_tpt_132_halfLds_dp_op_CI_CI_unitstride_sbrr_C2R_dirReg
	.p2align	8
	.type	fft_rtc_back_len1452_factors_11_3_11_4_wgs_132_tpt_132_halfLds_dp_op_CI_CI_unitstride_sbrr_C2R_dirReg,@function
fft_rtc_back_len1452_factors_11_3_11_4_wgs_132_tpt_132_halfLds_dp_op_CI_CI_unitstride_sbrr_C2R_dirReg: ; @fft_rtc_back_len1452_factors_11_3_11_4_wgs_132_tpt_132_halfLds_dp_op_CI_CI_unitstride_sbrr_C2R_dirReg
; %bb.0:
	s_clause 0x2
	s_load_dwordx4 s[12:15], s[4:5], 0x0
	s_load_dwordx4 s[8:11], s[4:5], 0x58
	;; [unrolled: 1-line block ×3, first 2 shown]
	v_mul_u32_u24_e32 v1, 0x1f1, v0
	v_mov_b32_e32 v3, 0
	v_add_nc_u32_sdwa v5, s6, v1 dst_sel:DWORD dst_unused:UNUSED_PAD src0_sel:DWORD src1_sel:WORD_1
	v_mov_b32_e32 v1, 0
	v_mov_b32_e32 v6, v3
	v_mov_b32_e32 v2, 0
	s_waitcnt lgkmcnt(0)
	v_cmp_lt_u64_e64 s0, s[14:15], 2
	s_and_b32 vcc_lo, exec_lo, s0
	s_cbranch_vccnz .LBB0_8
; %bb.1:
	s_load_dwordx2 s[0:1], s[4:5], 0x10
	v_mov_b32_e32 v1, 0
	v_mov_b32_e32 v2, 0
	s_add_u32 s2, s18, 8
	s_addc_u32 s3, s19, 0
	s_add_u32 s6, s16, 8
	s_addc_u32 s7, s17, 0
	v_mov_b32_e32 v89, v2
	v_mov_b32_e32 v88, v1
	s_mov_b64 s[22:23], 1
	s_waitcnt lgkmcnt(0)
	s_add_u32 s20, s0, 8
	s_addc_u32 s21, s1, 0
.LBB0_2:                                ; =>This Inner Loop Header: Depth=1
	s_load_dwordx2 s[24:25], s[20:21], 0x0
                                        ; implicit-def: $vgpr92_vgpr93
	s_mov_b32 s0, exec_lo
	s_waitcnt lgkmcnt(0)
	v_or_b32_e32 v4, s25, v6
	v_cmpx_ne_u64_e32 0, v[3:4]
	s_xor_b32 s1, exec_lo, s0
	s_cbranch_execz .LBB0_4
; %bb.3:                                ;   in Loop: Header=BB0_2 Depth=1
	v_cvt_f32_u32_e32 v4, s24
	v_cvt_f32_u32_e32 v7, s25
	s_sub_u32 s0, 0, s24
	s_subb_u32 s26, 0, s25
	v_fmac_f32_e32 v4, 0x4f800000, v7
	v_rcp_f32_e32 v4, v4
	v_mul_f32_e32 v4, 0x5f7ffffc, v4
	v_mul_f32_e32 v7, 0x2f800000, v4
	v_trunc_f32_e32 v7, v7
	v_fmac_f32_e32 v4, 0xcf800000, v7
	v_cvt_u32_f32_e32 v7, v7
	v_cvt_u32_f32_e32 v4, v4
	v_mul_lo_u32 v8, s0, v7
	v_mul_hi_u32 v9, s0, v4
	v_mul_lo_u32 v10, s26, v4
	v_add_nc_u32_e32 v8, v9, v8
	v_mul_lo_u32 v9, s0, v4
	v_add_nc_u32_e32 v8, v8, v10
	v_mul_hi_u32 v10, v4, v9
	v_mul_lo_u32 v11, v4, v8
	v_mul_hi_u32 v12, v4, v8
	v_mul_hi_u32 v13, v7, v9
	v_mul_lo_u32 v9, v7, v9
	v_mul_hi_u32 v14, v7, v8
	v_mul_lo_u32 v8, v7, v8
	v_add_co_u32 v10, vcc_lo, v10, v11
	v_add_co_ci_u32_e32 v11, vcc_lo, 0, v12, vcc_lo
	v_add_co_u32 v9, vcc_lo, v10, v9
	v_add_co_ci_u32_e32 v9, vcc_lo, v11, v13, vcc_lo
	v_add_co_ci_u32_e32 v10, vcc_lo, 0, v14, vcc_lo
	v_add_co_u32 v8, vcc_lo, v9, v8
	v_add_co_ci_u32_e32 v9, vcc_lo, 0, v10, vcc_lo
	v_add_co_u32 v4, vcc_lo, v4, v8
	v_add_co_ci_u32_e32 v7, vcc_lo, v7, v9, vcc_lo
	v_mul_hi_u32 v8, s0, v4
	v_mul_lo_u32 v10, s26, v4
	v_mul_lo_u32 v9, s0, v7
	v_add_nc_u32_e32 v8, v8, v9
	v_mul_lo_u32 v9, s0, v4
	v_add_nc_u32_e32 v8, v8, v10
	v_mul_hi_u32 v10, v4, v9
	v_mul_lo_u32 v11, v4, v8
	v_mul_hi_u32 v12, v4, v8
	v_mul_hi_u32 v13, v7, v9
	v_mul_lo_u32 v9, v7, v9
	v_mul_hi_u32 v14, v7, v8
	v_mul_lo_u32 v8, v7, v8
	v_add_co_u32 v10, vcc_lo, v10, v11
	v_add_co_ci_u32_e32 v11, vcc_lo, 0, v12, vcc_lo
	v_add_co_u32 v9, vcc_lo, v10, v9
	v_add_co_ci_u32_e32 v9, vcc_lo, v11, v13, vcc_lo
	v_add_co_ci_u32_e32 v10, vcc_lo, 0, v14, vcc_lo
	v_add_co_u32 v8, vcc_lo, v9, v8
	v_add_co_ci_u32_e32 v9, vcc_lo, 0, v10, vcc_lo
	v_add_co_u32 v4, vcc_lo, v4, v8
	v_add_co_ci_u32_e32 v11, vcc_lo, v7, v9, vcc_lo
	v_mul_hi_u32 v13, v5, v4
	v_mad_u64_u32 v[9:10], null, v6, v4, 0
	v_mad_u64_u32 v[7:8], null, v5, v11, 0
	;; [unrolled: 1-line block ×3, first 2 shown]
	v_add_co_u32 v4, vcc_lo, v13, v7
	v_add_co_ci_u32_e32 v7, vcc_lo, 0, v8, vcc_lo
	v_add_co_u32 v4, vcc_lo, v4, v9
	v_add_co_ci_u32_e32 v4, vcc_lo, v7, v10, vcc_lo
	v_add_co_ci_u32_e32 v7, vcc_lo, 0, v12, vcc_lo
	v_add_co_u32 v4, vcc_lo, v4, v11
	v_add_co_ci_u32_e32 v9, vcc_lo, 0, v7, vcc_lo
	v_mul_lo_u32 v10, s25, v4
	v_mad_u64_u32 v[7:8], null, s24, v4, 0
	v_mul_lo_u32 v11, s24, v9
	v_sub_co_u32 v7, vcc_lo, v5, v7
	v_add3_u32 v8, v8, v11, v10
	v_sub_nc_u32_e32 v10, v6, v8
	v_subrev_co_ci_u32_e64 v10, s0, s25, v10, vcc_lo
	v_add_co_u32 v11, s0, v4, 2
	v_add_co_ci_u32_e64 v12, s0, 0, v9, s0
	v_sub_co_u32 v13, s0, v7, s24
	v_sub_co_ci_u32_e32 v8, vcc_lo, v6, v8, vcc_lo
	v_subrev_co_ci_u32_e64 v10, s0, 0, v10, s0
	v_cmp_le_u32_e32 vcc_lo, s24, v13
	v_cmp_eq_u32_e64 s0, s25, v8
	v_cndmask_b32_e64 v13, 0, -1, vcc_lo
	v_cmp_le_u32_e32 vcc_lo, s25, v10
	v_cndmask_b32_e64 v14, 0, -1, vcc_lo
	v_cmp_le_u32_e32 vcc_lo, s24, v7
	;; [unrolled: 2-line block ×3, first 2 shown]
	v_cndmask_b32_e64 v15, 0, -1, vcc_lo
	v_cmp_eq_u32_e32 vcc_lo, s25, v10
	v_cndmask_b32_e64 v7, v15, v7, s0
	v_cndmask_b32_e32 v10, v14, v13, vcc_lo
	v_add_co_u32 v13, vcc_lo, v4, 1
	v_add_co_ci_u32_e32 v14, vcc_lo, 0, v9, vcc_lo
	v_cmp_ne_u32_e32 vcc_lo, 0, v10
	v_cndmask_b32_e32 v8, v14, v12, vcc_lo
	v_cndmask_b32_e32 v10, v13, v11, vcc_lo
	v_cmp_ne_u32_e32 vcc_lo, 0, v7
	v_cndmask_b32_e32 v93, v9, v8, vcc_lo
	v_cndmask_b32_e32 v92, v4, v10, vcc_lo
.LBB0_4:                                ;   in Loop: Header=BB0_2 Depth=1
	s_andn2_saveexec_b32 s0, s1
	s_cbranch_execz .LBB0_6
; %bb.5:                                ;   in Loop: Header=BB0_2 Depth=1
	v_cvt_f32_u32_e32 v4, s24
	s_sub_i32 s1, 0, s24
	v_mov_b32_e32 v93, v3
	v_rcp_iflag_f32_e32 v4, v4
	v_mul_f32_e32 v4, 0x4f7ffffe, v4
	v_cvt_u32_f32_e32 v4, v4
	v_mul_lo_u32 v7, s1, v4
	v_mul_hi_u32 v7, v4, v7
	v_add_nc_u32_e32 v4, v4, v7
	v_mul_hi_u32 v4, v5, v4
	v_mul_lo_u32 v7, v4, s24
	v_add_nc_u32_e32 v8, 1, v4
	v_sub_nc_u32_e32 v7, v5, v7
	v_subrev_nc_u32_e32 v9, s24, v7
	v_cmp_le_u32_e32 vcc_lo, s24, v7
	v_cndmask_b32_e32 v7, v7, v9, vcc_lo
	v_cndmask_b32_e32 v4, v4, v8, vcc_lo
	v_cmp_le_u32_e32 vcc_lo, s24, v7
	v_add_nc_u32_e32 v8, 1, v4
	v_cndmask_b32_e32 v92, v4, v8, vcc_lo
.LBB0_6:                                ;   in Loop: Header=BB0_2 Depth=1
	s_or_b32 exec_lo, exec_lo, s0
	v_mul_lo_u32 v4, v93, s24
	v_mul_lo_u32 v9, v92, s25
	s_load_dwordx2 s[0:1], s[6:7], 0x0
	v_mad_u64_u32 v[7:8], null, v92, s24, 0
	s_load_dwordx2 s[24:25], s[2:3], 0x0
	s_add_u32 s22, s22, 1
	s_addc_u32 s23, s23, 0
	s_add_u32 s2, s2, 8
	s_addc_u32 s3, s3, 0
	s_add_u32 s6, s6, 8
	v_add3_u32 v4, v8, v9, v4
	v_sub_co_u32 v5, vcc_lo, v5, v7
	s_addc_u32 s7, s7, 0
	s_add_u32 s20, s20, 8
	v_sub_co_ci_u32_e32 v4, vcc_lo, v6, v4, vcc_lo
	s_addc_u32 s21, s21, 0
	s_waitcnt lgkmcnt(0)
	v_mul_lo_u32 v6, s0, v4
	v_mul_lo_u32 v7, s1, v5
	v_mad_u64_u32 v[1:2], null, s0, v5, v[1:2]
	v_mul_lo_u32 v4, s24, v4
	v_mul_lo_u32 v8, s25, v5
	v_mad_u64_u32 v[88:89], null, s24, v5, v[88:89]
	v_cmp_ge_u64_e64 s0, s[22:23], s[14:15]
	v_add3_u32 v2, v7, v2, v6
	v_add3_u32 v89, v8, v89, v4
	s_and_b32 vcc_lo, exec_lo, s0
	s_cbranch_vccnz .LBB0_9
; %bb.7:                                ;   in Loop: Header=BB0_2 Depth=1
	v_mov_b32_e32 v5, v92
	v_mov_b32_e32 v6, v93
	s_branch .LBB0_2
.LBB0_8:
	v_mov_b32_e32 v89, v2
	v_mov_b32_e32 v93, v6
	;; [unrolled: 1-line block ×4, first 2 shown]
.LBB0_9:
	s_load_dwordx2 s[0:1], s[4:5], 0x28
	v_mul_hi_u32 v3, 0x1f07c20, v0
	s_lshl_b64 s[4:5], s[14:15], 3
                                        ; implicit-def: $vgpr90
	s_add_u32 s2, s18, s4
	s_addc_u32 s3, s19, s5
	s_waitcnt lgkmcnt(0)
	v_cmp_gt_u64_e32 vcc_lo, s[0:1], v[92:93]
	v_cmp_le_u64_e64 s0, s[0:1], v[92:93]
	s_and_saveexec_b32 s1, s0
	s_xor_b32 s0, exec_lo, s1
; %bb.10:
	v_mul_u32_u24_e32 v1, 0x84, v3
                                        ; implicit-def: $vgpr3
	v_sub_nc_u32_e32 v90, v0, v1
                                        ; implicit-def: $vgpr0
                                        ; implicit-def: $vgpr1_vgpr2
; %bb.11:
	s_or_saveexec_b32 s1, s0
	s_load_dwordx2 s[2:3], s[2:3], 0x0
	s_xor_b32 exec_lo, exec_lo, s1
	s_cbranch_execz .LBB0_15
; %bb.12:
	s_add_u32 s4, s16, s4
	s_addc_u32 s5, s17, s5
	v_lshlrev_b64 v[1:2], 4, v[1:2]
	s_load_dwordx2 s[4:5], s[4:5], 0x0
	s_waitcnt lgkmcnt(0)
	v_mul_lo_u32 v6, s5, v92
	v_mul_lo_u32 v7, s4, v93
	v_mad_u64_u32 v[4:5], null, s4, v92, 0
	s_mov_b32 s4, exec_lo
	v_add3_u32 v5, v5, v7, v6
	v_mul_u32_u24_e32 v6, 0x84, v3
	v_lshlrev_b64 v[3:4], 4, v[4:5]
	v_sub_nc_u32_e32 v90, v0, v6
	v_lshlrev_b32_e32 v46, 4, v90
	v_add_co_u32 v0, s0, s8, v3
	v_add_co_ci_u32_e64 v3, s0, s9, v4, s0
	v_add_co_u32 v0, s0, v0, v1
	v_add_co_ci_u32_e64 v1, s0, v3, v2, s0
	;; [unrolled: 2-line block ×3, first 2 shown]
	v_add_nc_u32_e32 v46, 0, v46
	v_add_co_u32 v6, s0, 0x800, v26
	v_add_co_ci_u32_e64 v7, s0, 0, v27, s0
	v_add_co_u32 v10, s0, 0x1000, v26
	v_add_co_ci_u32_e64 v11, s0, 0, v27, s0
	;; [unrolled: 2-line block ×10, first 2 shown]
	s_clause 0xa
	global_load_dwordx4 v[2:5], v[26:27], off
	global_load_dwordx4 v[6:9], v[6:7], off offset:64
	global_load_dwordx4 v[10:13], v[10:11], off offset:128
	;; [unrolled: 1-line block ×10, first 2 shown]
	s_waitcnt vmcnt(10)
	ds_write_b128 v46, v[2:5]
	s_waitcnt vmcnt(9)
	ds_write_b128 v46, v[6:9] offset:2112
	s_waitcnt vmcnt(8)
	ds_write_b128 v46, v[10:13] offset:4224
	;; [unrolled: 2-line block ×10, first 2 shown]
	v_cmpx_eq_u32_e32 0x83, v90
	s_cbranch_execz .LBB0_14
; %bb.13:
	v_add_co_u32 v0, s0, 0x5800, v0
	v_add_co_ci_u32_e64 v1, s0, 0, v1, s0
	v_mov_b32_e32 v4, 0
	v_mov_b32_e32 v90, 0x83
	global_load_dwordx4 v[0:3], v[0:1], off offset:704
	s_waitcnt vmcnt(0)
	ds_write_b128 v4, v[0:3] offset:23232
.LBB0_14:
	s_or_b32 exec_lo, exec_lo, s4
.LBB0_15:
	s_or_b32 exec_lo, exec_lo, s1
	v_lshlrev_b32_e32 v0, 4, v90
	s_waitcnt lgkmcnt(0)
	s_barrier
	buffer_gl0_inv
	s_add_u32 s1, s12, 0x5a10
	v_add_nc_u32_e32 v96, 0, v0
	v_sub_nc_u32_e32 v8, 0, v0
	s_addc_u32 s4, s13, 0
	s_mov_b32 s5, exec_lo
	ds_read_b64 v[4:5], v96
	ds_read_b64 v[6:7], v8 offset:23232
	s_waitcnt lgkmcnt(0)
	v_add_f64 v[0:1], v[4:5], v[6:7]
	v_add_f64 v[2:3], v[4:5], -v[6:7]
	v_cmpx_ne_u32_e32 0, v90
	s_xor_b32 s5, exec_lo, s5
	s_cbranch_execz .LBB0_17
; %bb.16:
	v_mov_b32_e32 v91, 0
	v_add_f64 v[13:14], v[4:5], v[6:7]
	v_add_f64 v[15:16], v[4:5], -v[6:7]
	v_lshlrev_b64 v[0:1], 4, v[90:91]
	v_add_co_u32 v0, s0, s1, v0
	v_add_co_ci_u32_e64 v1, s0, s4, v1, s0
	global_load_dwordx4 v[9:12], v[0:1], off
	ds_read_b64 v[0:1], v8 offset:23240
	ds_read_b64 v[2:3], v96 offset:8
	s_waitcnt lgkmcnt(0)
	v_add_f64 v[4:5], v[0:1], v[2:3]
	v_add_f64 v[0:1], v[2:3], -v[0:1]
	s_waitcnt vmcnt(0)
	v_fma_f64 v[2:3], v[15:16], v[11:12], v[13:14]
	v_fma_f64 v[6:7], -v[15:16], v[11:12], v[13:14]
	v_fma_f64 v[13:14], v[4:5], v[11:12], -v[0:1]
	v_fma_f64 v[11:12], v[4:5], v[11:12], v[0:1]
	v_fma_f64 v[0:1], -v[4:5], v[9:10], v[2:3]
	v_fma_f64 v[4:5], v[4:5], v[9:10], v[6:7]
	v_fma_f64 v[6:7], v[15:16], v[9:10], v[13:14]
	;; [unrolled: 1-line block ×3, first 2 shown]
	ds_write_b128 v8, v[4:7] offset:23232
.LBB0_17:
	s_andn2_saveexec_b32 s0, s5
	s_cbranch_execz .LBB0_19
; %bb.18:
	v_mov_b32_e32 v9, 0
	ds_read_b128 v[4:7], v9 offset:11616
	s_waitcnt lgkmcnt(0)
	v_add_f64 v[4:5], v[4:5], v[4:5]
	v_mul_f64 v[6:7], v[6:7], -2.0
	ds_write_b128 v9, v[4:7] offset:11616
.LBB0_19:
	s_or_b32 exec_lo, exec_lo, s0
	v_add_nc_u32_e32 v48, 0x84, v90
	v_mov_b32_e32 v49, 0
	v_add_nc_u32_e32 v94, 0x108, v90
	v_add_nc_u32_e32 v50, 0x18c, v90
	;; [unrolled: 1-line block ×3, first 2 shown]
	ds_write_b128 v96, v[0:3]
	v_lshlrev_b64 v[4:5], 4, v[48:49]
	v_mov_b32_e32 v95, v49
	v_mov_b32_e32 v51, v49
	;; [unrolled: 1-line block ×3, first 2 shown]
	s_mov_b32 s5, exec_lo
	v_add_co_u32 v4, s0, s1, v4
	v_add_co_ci_u32_e64 v5, s0, s4, v5, s0
	v_lshlrev_b64 v[9:10], 4, v[94:95]
	v_lshlrev_b64 v[13:14], 4, v[50:51]
	;; [unrolled: 1-line block ×3, first 2 shown]
	global_load_dwordx4 v[4:7], v[4:5], off
	v_add_co_u32 v9, s0, s1, v9
	v_add_co_ci_u32_e64 v10, s0, s4, v10, s0
	v_add_co_u32 v13, s0, s1, v13
	v_add_co_ci_u32_e64 v14, s0, s4, v14, s0
	global_load_dwordx4 v[9:12], v[9:10], off
	v_add_co_u32 v21, s0, s1, v17
	global_load_dwordx4 v[13:16], v[13:14], off
	v_add_co_ci_u32_e64 v22, s0, s4, v18, s0
	ds_read_b128 v[0:3], v96 offset:2112
	ds_read_b128 v[17:20], v8 offset:21120
	global_load_dwordx4 v[21:24], v[21:22], off
	s_waitcnt lgkmcnt(0)
	v_add_f64 v[25:26], v[0:1], v[17:18]
	v_add_f64 v[27:28], v[19:20], v[2:3]
	v_add_f64 v[29:30], v[0:1], -v[17:18]
	v_add_f64 v[0:1], v[2:3], -v[19:20]
	s_waitcnt vmcnt(3)
	v_fma_f64 v[2:3], v[29:30], v[6:7], v[25:26]
	v_fma_f64 v[17:18], v[27:28], v[6:7], v[0:1]
	v_fma_f64 v[19:20], -v[29:30], v[6:7], v[25:26]
	v_fma_f64 v[6:7], v[27:28], v[6:7], -v[0:1]
	v_fma_f64 v[0:1], -v[27:28], v[4:5], v[2:3]
	v_fma_f64 v[2:3], v[29:30], v[4:5], v[17:18]
	v_fma_f64 v[17:18], v[27:28], v[4:5], v[19:20]
	v_fma_f64 v[19:20], v[29:30], v[4:5], v[6:7]
	ds_write_b128 v96, v[0:3] offset:2112
	ds_write_b128 v8, v[17:20] offset:21120
	ds_read_b128 v[0:3], v96 offset:4224
	ds_read_b128 v[4:7], v8 offset:19008
	s_waitcnt lgkmcnt(0)
	v_add_f64 v[17:18], v[0:1], v[4:5]
	v_add_f64 v[19:20], v[6:7], v[2:3]
	v_add_f64 v[25:26], v[0:1], -v[4:5]
	v_add_f64 v[0:1], v[2:3], -v[6:7]
	s_waitcnt vmcnt(2)
	v_fma_f64 v[2:3], v[25:26], v[11:12], v[17:18]
	v_fma_f64 v[4:5], v[19:20], v[11:12], v[0:1]
	v_fma_f64 v[6:7], -v[25:26], v[11:12], v[17:18]
	v_fma_f64 v[11:12], v[19:20], v[11:12], -v[0:1]
	v_fma_f64 v[0:1], -v[19:20], v[9:10], v[2:3]
	v_fma_f64 v[2:3], v[25:26], v[9:10], v[4:5]
	v_fma_f64 v[4:5], v[19:20], v[9:10], v[6:7]
	v_fma_f64 v[6:7], v[25:26], v[9:10], v[11:12]
	ds_write_b128 v96, v[0:3] offset:4224
	ds_write_b128 v8, v[4:7] offset:19008
	ds_read_b128 v[0:3], v96 offset:6336
	ds_read_b128 v[4:7], v8 offset:16896
	;; [unrolled: 18-line block ×3, first 2 shown]
	s_waitcnt lgkmcnt(0)
	v_add_f64 v[9:10], v[0:1], v[4:5]
	v_add_f64 v[11:12], v[6:7], v[2:3]
	v_add_f64 v[13:14], v[0:1], -v[4:5]
	v_add_f64 v[0:1], v[2:3], -v[6:7]
	s_waitcnt vmcnt(0)
	v_fma_f64 v[2:3], v[13:14], v[23:24], v[9:10]
	v_fma_f64 v[4:5], v[11:12], v[23:24], v[0:1]
	v_fma_f64 v[6:7], -v[13:14], v[23:24], v[9:10]
	v_fma_f64 v[9:10], v[11:12], v[23:24], -v[0:1]
	v_fma_f64 v[0:1], -v[11:12], v[21:22], v[2:3]
	v_fma_f64 v[2:3], v[13:14], v[21:22], v[4:5]
	v_fma_f64 v[4:5], v[11:12], v[21:22], v[6:7]
	;; [unrolled: 1-line block ×3, first 2 shown]
	ds_write_b128 v96, v[0:3] offset:8448
	ds_write_b128 v8, v[4:7] offset:14784
	v_cmpx_gt_u32_e32 0x42, v90
	s_cbranch_execz .LBB0_21
; %bb.20:
	v_add_nc_u32_e32 v0, 0x294, v90
	v_mov_b32_e32 v1, v49
	v_lshlrev_b64 v[0:1], 4, v[0:1]
	v_add_co_u32 v0, s0, s1, v0
	v_add_co_ci_u32_e64 v1, s0, s4, v1, s0
	global_load_dwordx4 v[0:3], v[0:1], off
	ds_read_b128 v[4:7], v96 offset:10560
	ds_read_b128 v[9:12], v8 offset:12672
	s_waitcnt lgkmcnt(0)
	v_add_f64 v[13:14], v[4:5], v[9:10]
	v_add_f64 v[15:16], v[11:12], v[6:7]
	v_add_f64 v[17:18], v[4:5], -v[9:10]
	v_add_f64 v[4:5], v[6:7], -v[11:12]
	s_waitcnt vmcnt(0)
	v_fma_f64 v[6:7], v[17:18], v[2:3], v[13:14]
	v_fma_f64 v[9:10], v[15:16], v[2:3], v[4:5]
	v_fma_f64 v[11:12], -v[17:18], v[2:3], v[13:14]
	v_fma_f64 v[13:14], v[15:16], v[2:3], -v[4:5]
	v_fma_f64 v[2:3], -v[15:16], v[0:1], v[6:7]
	v_fma_f64 v[4:5], v[17:18], v[0:1], v[9:10]
	v_fma_f64 v[9:10], v[15:16], v[0:1], v[11:12]
	;; [unrolled: 1-line block ×3, first 2 shown]
	ds_write_b128 v96, v[2:5] offset:10560
	ds_write_b128 v8, v[9:12] offset:12672
.LBB0_21:
	s_or_b32 exec_lo, exec_lo, s5
	s_waitcnt lgkmcnt(0)
	s_barrier
	buffer_gl0_inv
	s_barrier
	buffer_gl0_inv
	ds_read_b128 v[4:7], v96
	ds_read_b128 v[24:27], v96 offset:2112
	ds_read_b128 v[28:31], v96 offset:4224
	;; [unrolled: 1-line block ×10, first 2 shown]
	s_mov_b32 s0, 0xf8bb580b
	s_mov_b32 s1, 0xbfe14ced
	;; [unrolled: 1-line block ×10, first 2 shown]
	s_waitcnt lgkmcnt(9)
	v_add_f64 v[46:47], v[6:7], v[26:27]
	v_add_f64 v[44:45], v[4:5], v[24:25]
	s_mov_b32 s22, 0x640f44db
	s_mov_b32 s6, 0x43842ef
	;; [unrolled: 1-line block ×5, first 2 shown]
	s_waitcnt lgkmcnt(2)
	v_add_f64 v[59:60], v[34:35], v[14:15]
	v_add_f64 v[63:64], v[34:35], -v[14:15]
	s_waitcnt lgkmcnt(0)
	v_add_f64 v[51:52], v[26:27], -v[2:3]
	v_add_f64 v[26:27], v[26:27], v[2:3]
	v_add_f64 v[57:58], v[32:33], v[12:13]
	v_add_f64 v[61:62], v[32:33], -v[12:13]
	v_add_f64 v[55:56], v[30:31], v[10:11]
	v_add_f64 v[77:78], v[24:25], v[0:1]
	v_add_f64 v[24:25], v[24:25], -v[0:1]
	v_add_f64 v[53:54], v[28:29], v[8:9]
	s_mov_b32 s18, 0x7f775887
	s_mov_b32 s7, 0xbfefac9e
	;; [unrolled: 1-line block ×5, first 2 shown]
	v_add_f64 v[46:47], v[46:47], v[30:31]
	v_add_f64 v[44:45], v[44:45], v[28:29]
	v_add_f64 v[30:31], v[30:31], -v[10:11]
	v_add_f64 v[28:29], v[28:29], -v[8:9]
	s_mov_b32 s29, 0x3fed1bb4
	s_mov_b32 s28, s4
	v_add_f64 v[65:66], v[36:37], v[16:17]
	v_add_f64 v[71:72], v[42:43], v[22:23]
	v_add_f64 v[73:74], v[42:43], -v[22:23]
	v_mul_f64 v[79:80], v[51:52], s[0:1]
	v_mul_f64 v[97:98], v[26:27], s[16:17]
	;; [unrolled: 1-line block ×10, first 2 shown]
	v_add_f64 v[67:68], v[38:39], v[18:19]
	v_add_f64 v[69:70], v[40:41], v[20:21]
	v_add_f64 v[75:76], v[40:41], -v[20:21]
	v_add_f64 v[34:35], v[46:47], v[34:35]
	v_add_f64 v[32:33], v[44:45], v[32:33]
	v_mul_f64 v[105:106], v[30:31], s[4:5]
	v_add_f64 v[44:45], v[36:37], -v[16:17]
	v_add_f64 v[46:47], v[38:39], -v[18:19]
	v_mul_f64 v[103:104], v[26:27], s[18:19]
	s_mov_b32 s20, 0x9bcd5057
	s_mov_b32 s21, 0xbfeeb42a
	;; [unrolled: 1-line block ×3, first 2 shown]
	v_fma_f64 v[141:142], v[77:78], s[16:17], v[79:80]
	v_fma_f64 v[143:144], v[24:25], s[24:25], v[97:98]
	;; [unrolled: 1-line block ×3, first 2 shown]
	s_mov_b32 s30, s6
	v_fma_f64 v[165:166], v[28:29], s[28:29], v[107:108]
	s_mov_b32 s37, 0x3fe82f19
	s_mov_b32 s36, s8
	v_mul_f64 v[117:118], v[30:31], s[8:9]
	v_mul_f64 v[135:136], v[55:56], s[20:21]
	v_fma_f64 v[153:154], v[77:78], s[26:27], v[81:82]
	v_fma_f64 v[161:162], v[24:25], s[30:31], v[101:102]
	v_mul_f64 v[26:27], v[26:27], s[20:21]
	v_mul_f64 v[123:124], v[59:60], s[20:21]
	v_add_f64 v[34:35], v[34:35], v[38:39]
	v_add_f64 v[32:33], v[32:33], v[36:37]
	v_mul_f64 v[36:37], v[63:64], s[6:7]
	v_fma_f64 v[163:164], v[53:54], s[26:27], v[105:106]
	v_mul_f64 v[38:39], v[59:60], s[22:23]
	v_mul_f64 v[109:110], v[46:47], s[8:9]
	;; [unrolled: 1-line block ×3, first 2 shown]
	v_fma_f64 v[79:80], v[77:78], s[16:17], -v[79:80]
	v_fma_f64 v[81:82], v[77:78], s[26:27], -v[81:82]
	v_add_f64 v[141:142], v[4:5], v[141:142]
	v_add_f64 v[143:144], v[6:7], v[143:144]
	v_fma_f64 v[157:158], v[77:78], s[22:23], v[83:84]
	v_fma_f64 v[83:84], v[77:78], s[22:23], -v[83:84]
	v_fma_f64 v[159:160], v[77:78], s[18:19], v[85:86]
	v_add_f64 v[155:156], v[6:7], v[155:156]
	v_mul_f64 v[111:112], v[67:68], s[18:19]
	v_mul_f64 v[147:148], v[55:56], s[22:23]
	v_fma_f64 v[167:168], v[24:25], s[36:37], v[103:104]
	s_mov_b32 s35, 0x3fd207e7
	s_mov_b32 s34, s14
	v_mul_f64 v[139:140], v[59:60], s[26:27]
	v_mul_f64 v[133:134], v[30:31], s[34:35]
	v_add_f64 v[34:35], v[34:35], v[42:43]
	v_add_f64 v[32:33], v[32:33], v[40:41]
	v_fma_f64 v[169:170], v[57:58], s[22:23], v[36:37]
	v_mul_f64 v[121:122], v[63:64], s[34:35]
	v_fma_f64 v[171:172], v[61:62], s[30:31], v[38:39]
	v_add_f64 v[153:154], v[4:5], v[153:154]
	v_fma_f64 v[175:176], v[28:29], s[14:15], v[135:136]
	v_add_f64 v[161:162], v[6:7], v[161:162]
	v_mul_f64 v[149:150], v[63:64], s[0:1]
	v_add_f64 v[141:142], v[163:164], v[141:142]
	v_add_f64 v[143:144], v[165:166], v[143:144]
	v_mul_f64 v[30:31], v[30:31], s[24:25]
	v_mul_f64 v[55:56], v[55:56], s[16:17]
	v_fma_f64 v[103:104], v[24:25], s[8:9], v[103:104]
	v_fma_f64 v[165:166], v[61:62], s[14:15], v[123:124]
	;; [unrolled: 1-line block ×3, first 2 shown]
	v_mul_f64 v[151:152], v[59:60], s[16:17]
	v_fma_f64 v[187:188], v[28:29], s[6:7], v[147:148]
	v_mul_f64 v[137:138], v[63:64], s[28:29]
	v_add_f64 v[157:158], v[4:5], v[157:158]
	v_fma_f64 v[145:146], v[53:54], s[22:23], -v[145:146]
	v_fma_f64 v[173:174], v[53:54], s[20:21], v[133:134]
	v_add_f64 v[22:23], v[34:35], v[22:23]
	v_add_f64 v[20:21], v[32:33], v[20:21]
	v_fma_f64 v[32:33], v[77:78], s[18:19], -v[85:86]
	v_fma_f64 v[34:35], v[77:78], s[20:21], v[51:52]
	v_fma_f64 v[51:52], v[77:78], s[20:21], -v[51:52]
	v_fma_f64 v[77:78], v[24:25], s[0:1], v[97:98]
	v_fma_f64 v[97:98], v[24:25], s[6:7], v[101:102]
	;; [unrolled: 1-line block ×5, first 2 shown]
	v_add_f64 v[141:142], v[169:170], v[141:142]
	v_add_f64 v[143:144], v[171:172], v[143:144]
	v_fma_f64 v[163:164], v[57:58], s[20:21], v[121:122]
	v_add_f64 v[161:162], v[175:176], v[161:162]
	v_add_f64 v[103:104], v[6:7], v[103:104]
	v_fma_f64 v[147:148], v[28:29], s[30:31], v[147:148]
	v_mul_f64 v[63:64], v[63:64], s[8:9]
	v_mul_f64 v[59:60], v[59:60], s[18:19]
	v_add_f64 v[81:82], v[4:5], v[81:82]
	v_add_f64 v[83:84], v[4:5], v[83:84]
	v_fma_f64 v[105:106], v[53:54], s[26:27], -v[105:106]
	v_fma_f64 v[107:108], v[28:29], s[4:5], v[107:108]
	v_add_f64 v[18:19], v[22:23], v[18:19]
	v_add_f64 v[16:17], v[20:21], v[16:17]
	v_fma_f64 v[20:21], v[24:25], s[34:35], v[26:27]
	v_fma_f64 v[22:23], v[24:25], s[14:15], v[26:27]
	;; [unrolled: 1-line block ×4, first 2 shown]
	v_add_f64 v[32:33], v[4:5], v[32:33]
	v_add_f64 v[101:102], v[101:102], v[155:156]
	v_fma_f64 v[155:156], v[61:62], s[4:5], v[139:140]
	v_add_f64 v[99:100], v[99:100], v[153:154]
	v_add_f64 v[34:35], v[4:5], v[34:35]
	;; [unrolled: 1-line block ×4, first 2 shown]
	v_fma_f64 v[117:118], v[53:54], s[18:19], -v[117:118]
	v_fma_f64 v[119:120], v[28:29], s[8:9], v[119:120]
	v_mul_f64 v[125:126], v[46:47], s[30:31]
	v_mul_f64 v[127:128], v[67:68], s[22:23]
	;; [unrolled: 1-line block ×4, first 2 shown]
	v_fma_f64 v[153:154], v[57:58], s[26:27], v[137:138]
	v_add_f64 v[157:158], v[173:174], v[157:158]
	v_add_f64 v[103:104], v[147:148], v[103:104]
	;; [unrolled: 1-line block ×11, first 2 shown]
	v_fma_f64 v[141:142], v[57:58], s[16:17], v[149:150]
	v_fma_f64 v[165:166], v[53:54], s[16:17], v[30:31]
	;; [unrolled: 1-line block ×3, first 2 shown]
	v_add_f64 v[4:5], v[4:5], v[51:52]
	v_add_f64 v[6:7], v[6:7], v[22:23]
	v_fma_f64 v[30:31], v[53:54], s[16:17], -v[30:31]
	v_fma_f64 v[55:56], v[28:29], s[24:25], v[55:56]
	v_add_f64 v[26:27], v[26:27], v[143:144]
	v_fma_f64 v[143:144], v[61:62], s[24:25], v[151:152]
	v_fma_f64 v[53:54], v[53:54], s[20:21], -v[133:134]
	v_fma_f64 v[28:29], v[28:29], s[34:35], v[135:136]
	v_add_f64 v[99:100], v[163:164], v[99:100]
	v_add_f64 v[51:52], v[155:156], v[161:162]
	v_mul_f64 v[161:162], v[46:47], s[14:15]
	v_mul_f64 v[163:164], v[67:68], s[20:21]
	v_add_f64 v[77:78], v[185:186], v[77:78]
	v_add_f64 v[32:33], v[145:146], v[32:33]
	v_fma_f64 v[145:146], v[57:58], s[18:19], v[63:64]
	v_add_f64 v[79:80], v[187:188], v[79:80]
	v_fma_f64 v[147:148], v[61:62], s[36:37], v[59:60]
	v_mul_f64 v[46:47], v[46:47], s[28:29]
	v_mul_f64 v[67:68], v[67:68], s[26:27]
	v_add_f64 v[16:17], v[105:106], v[16:17]
	v_add_f64 v[34:35], v[165:166], v[34:35]
	;; [unrolled: 1-line block ×4, first 2 shown]
	v_fma_f64 v[36:37], v[57:58], s[22:23], -v[36:37]
	v_add_f64 v[4:5], v[30:31], v[4:5]
	v_add_f64 v[6:7], v[55:56], v[6:7]
	v_fma_f64 v[30:31], v[57:58], s[18:19], -v[63:64]
	v_fma_f64 v[55:56], v[61:62], s[8:9], v[59:60]
	v_add_f64 v[59:60], v[117:118], v[81:82]
	v_add_f64 v[63:64], v[119:120], v[85:86]
	;; [unrolled: 1-line block ×4, first 2 shown]
	v_fma_f64 v[38:39], v[61:62], s[6:7], v[38:39]
	v_fma_f64 v[81:82], v[57:58], s[20:21], -v[121:122]
	v_add_f64 v[77:78], v[141:142], v[77:78]
	v_fma_f64 v[141:142], v[57:58], s[16:17], -v[149:150]
	v_fma_f64 v[83:84], v[61:62], s[34:35], v[123:124]
	v_add_f64 v[79:80], v[143:144], v[79:80]
	v_fma_f64 v[143:144], v[61:62], s[0:1], v[151:152]
	v_fma_f64 v[57:58], v[57:58], s[26:27], -v[137:138]
	v_fma_f64 v[61:62], v[61:62], s[28:29], v[139:140]
	v_mul_f64 v[113:114], v[73:74], s[14:15]
	v_mul_f64 v[115:116], v[71:72], s[20:21]
	;; [unrolled: 1-line block ×4, first 2 shown]
	v_fma_f64 v[177:178], v[65:66], s[22:23], v[125:126]
	v_fma_f64 v[179:180], v[44:45], s[6:7], v[127:128]
	;; [unrolled: 1-line block ×4, first 2 shown]
	v_add_f64 v[22:23], v[153:154], v[157:158]
	v_add_f64 v[8:9], v[12:13], v[8:9]
	;; [unrolled: 1-line block ×3, first 2 shown]
	v_mul_f64 v[12:13], v[73:74], s[8:9]
	v_mul_f64 v[14:15], v[71:72], s[18:19]
	v_fma_f64 v[133:134], v[65:66], s[20:21], v[161:162]
	v_fma_f64 v[135:136], v[44:45], s[34:35], v[163:164]
	v_mul_f64 v[85:86], v[73:74], s[28:29]
	v_mul_f64 v[97:98], v[71:72], s[26:27]
	v_add_f64 v[32:33], v[141:142], v[32:33]
	v_fma_f64 v[105:106], v[65:66], s[20:21], -v[161:162]
	v_add_f64 v[34:35], v[145:146], v[34:35]
	v_add_f64 v[20:21], v[147:148], v[20:21]
	v_fma_f64 v[117:118], v[65:66], s[26:27], v[46:47]
	v_fma_f64 v[119:120], v[44:45], s[4:5], v[67:68]
	v_mul_f64 v[73:74], v[73:74], s[6:7]
	v_mul_f64 v[71:72], v[71:72], s[22:23]
	v_add_f64 v[4:5], v[30:31], v[4:5]
	v_add_f64 v[6:7], v[55:56], v[6:7]
	v_fma_f64 v[30:31], v[65:66], s[26:27], -v[46:47]
	v_fma_f64 v[46:47], v[44:45], s[28:29], v[67:68]
	v_add_f64 v[103:104], v[143:144], v[103:104]
	v_fma_f64 v[107:108], v[44:45], s[14:15], v[163:164]
	v_add_f64 v[16:17], v[36:37], v[16:17]
	v_add_f64 v[18:19], v[38:39], v[18:19]
	;; [unrolled: 1-line block ×6, first 2 shown]
	v_fma_f64 v[55:56], v[65:66], s[18:19], -v[109:110]
	v_fma_f64 v[57:58], v[44:45], s[8:9], v[111:112]
	v_fma_f64 v[59:60], v[65:66], s[22:23], -v[125:126]
	v_fma_f64 v[61:62], v[44:45], s[30:31], v[127:128]
	v_fma_f64 v[40:41], v[65:66], s[16:17], -v[40:41]
	v_fma_f64 v[42:43], v[44:45], s[0:1], v[42:43]
	v_fma_f64 v[153:154], v[69:70], s[20:21], v[113:114]
	v_fma_f64 v[155:156], v[75:76], s[34:35], v[115:116]
	v_add_f64 v[99:100], v[177:178], v[99:100]
	v_add_f64 v[101:102], v[179:180], v[101:102]
	v_fma_f64 v[157:158], v[69:70], s[16:17], v[129:130]
	v_fma_f64 v[159:160], v[75:76], s[0:1], v[131:132]
	v_add_f64 v[22:23], v[181:182], v[22:23]
	v_add_f64 v[51:52], v[183:184], v[51:52]
	;; [unrolled: 4-line block ×3, first 2 shown]
	v_fma_f64 v[65:66], v[69:70], s[26:27], v[85:86]
	v_fma_f64 v[67:68], v[75:76], s[4:5], v[97:98]
	v_add_f64 v[32:33], v[105:106], v[32:33]
	v_fma_f64 v[79:80], v[69:70], s[26:27], -v[85:86]
	v_fma_f64 v[81:82], v[75:76], s[28:29], v[97:98]
	v_add_f64 v[34:35], v[117:118], v[34:35]
	v_add_f64 v[83:84], v[119:120], v[20:21]
	v_fma_f64 v[85:86], v[69:70], s[22:23], v[73:74]
	v_fma_f64 v[97:98], v[75:76], s[30:31], v[71:72]
	v_add_f64 v[4:5], v[30:31], v[4:5]
	v_add_f64 v[6:7], v[46:47], v[6:7]
	v_fma_f64 v[46:47], v[69:70], s[22:23], -v[73:74]
	v_fma_f64 v[71:72], v[75:76], s[6:7], v[71:72]
	v_add_f64 v[77:78], v[107:108], v[103:104]
	v_add_f64 v[16:17], v[55:56], v[16:17]
	;; [unrolled: 1-line block ×7, first 2 shown]
	v_fma_f64 v[53:54], v[69:70], s[20:21], -v[113:114]
	v_fma_f64 v[59:60], v[69:70], s[16:17], -v[129:130]
	v_fma_f64 v[61:62], v[69:70], s[18:19], -v[12:13]
	v_fma_f64 v[69:70], v[75:76], s[8:9], v[14:15]
	v_fma_f64 v[73:74], v[75:76], s[24:25], v[131:132]
	;; [unrolled: 1-line block ×3, first 2 shown]
	v_add_f64 v[0:1], v[8:9], v[0:1]
	v_add_f64 v[2:3], v[10:11], v[2:3]
	;; [unrolled: 1-line block ×22, first 2 shown]
	v_mad_u32_u24 v44, 0xa0, v90, v96
	s_barrier
	buffer_gl0_inv
	ds_write_b128 v44, v[0:3]
	ds_write_b128 v44, v[8:11] offset:16
	ds_write_b128 v44, v[12:15] offset:32
	;; [unrolled: 1-line block ×10, first 2 shown]
	s_waitcnt lgkmcnt(0)
	s_barrier
	buffer_gl0_inv
	ds_read_b128 v[0:3], v96
	ds_read_b128 v[12:15], v96 offset:2112
	ds_read_b128 v[20:23], v96 offset:15488
	;; [unrolled: 1-line block ×8, first 2 shown]
	v_cmp_gt_u32_e64 s0, 0x58, v90
                                        ; implicit-def: $vgpr46_vgpr47
	s_and_saveexec_b32 s1, s0
	s_cbranch_execz .LBB0_23
; %bb.22:
	ds_read_b128 v[4:7], v96 offset:6336
	ds_read_b128 v[16:19], v96 offset:14080
	;; [unrolled: 1-line block ×3, first 2 shown]
.LBB0_23:
	s_or_b32 exec_lo, exec_lo, s1
	v_and_b32_e32 v49, 0xff, v90
	v_mov_b32_e32 v53, 0xba2f
	v_mov_b32_e32 v67, 5
	s_mov_b32 s6, 0xe8584caa
	s_mov_b32 s7, 0xbfebb67a
	v_mul_lo_u16 v51, 0x75, v49
	v_mul_u32_u24_sdwa v54, v48, v53 dst_sel:DWORD dst_unused:UNUSED_PAD src0_sel:WORD_0 src1_sel:DWORD
	s_mov_b32 s5, 0x3febb67a
	s_mov_b32 s4, s6
	v_mov_b32_e32 v91, 4
	v_lshrrev_b16 v51, 8, v51
	v_lshrrev_b32_e32 v87, 19, v54
	v_sub_nc_u16 v52, v90, v51
	v_mul_lo_u16 v54, v87, 11
	v_lshrrev_b16 v52, 1, v52
	v_sub_nc_u16 v110, v48, v54
	v_and_b32_e32 v52, 0x7f, v52
	v_lshlrev_b32_sdwa v55, v67, v110 dst_sel:DWORD dst_unused:UNUSED_PAD src0_sel:DWORD src1_sel:WORD_0
	v_add_nc_u16 v51, v52, v51
	v_mul_u32_u24_sdwa v52, v94, v53 dst_sel:DWORD dst_unused:UNUSED_PAD src0_sel:WORD_0 src1_sel:DWORD
	v_lshrrev_b16 v95, 3, v51
	v_mul_u32_u24_sdwa v51, v50, v53 dst_sel:DWORD dst_unused:UNUSED_PAD src0_sel:WORD_0 src1_sel:DWORD
	v_lshrrev_b32_e32 v109, 19, v52
	v_mul_lo_u16 v52, v95, 11
	v_lshrrev_b32_e32 v48, 19, v51
	v_mul_lo_u16 v51, v109, 11
	v_sub_nc_u16 v111, v90, v52
	v_mul_lo_u16 v59, v48, 11
	v_sub_nc_u16 v112, v94, v51
	s_clause 0x1
	global_load_dwordx4 v[51:54], v55, s[12:13]
	global_load_dwordx4 v[55:58], v55, s[12:13] offset:16
	v_lshlrev_b32_sdwa v63, v67, v111 dst_sel:DWORD dst_unused:UNUSED_PAD src0_sel:DWORD src1_sel:BYTE_0
	v_sub_nc_u16 v50, v50, v59
	v_lshlrev_b32_sdwa v71, v67, v112 dst_sel:DWORD dst_unused:UNUSED_PAD src0_sel:DWORD src1_sel:WORD_0
	s_clause 0x1
	global_load_dwordx4 v[59:62], v63, s[12:13]
	global_load_dwordx4 v[63:66], v63, s[12:13] offset:16
	v_lshlrev_b32_sdwa v79, v67, v50 dst_sel:DWORD dst_unused:UNUSED_PAD src0_sel:DWORD src1_sel:WORD_0
	s_clause 0x3
	global_load_dwordx4 v[67:70], v71, s[12:13]
	global_load_dwordx4 v[71:74], v71, s[12:13] offset:16
	global_load_dwordx4 v[75:78], v79, s[12:13]
	global_load_dwordx4 v[79:82], v79, s[12:13] offset:16
	s_waitcnt vmcnt(0) lgkmcnt(0)
	s_barrier
	buffer_gl0_inv
	v_mul_f64 v[83:84], v[42:43], v[53:54]
	v_mul_f64 v[53:54], v[40:41], v[53:54]
	;; [unrolled: 1-line block ×16, first 2 shown]
	v_fma_f64 v[40:41], v[40:41], v[51:52], v[83:84]
	v_fma_f64 v[42:43], v[42:43], v[51:52], -v[53:54]
	v_fma_f64 v[36:37], v[36:37], v[55:56], v[85:86]
	v_fma_f64 v[38:39], v[38:39], v[55:56], -v[57:58]
	v_fma_f64 v[28:29], v[28:29], v[59:60], v[97:98]
	v_fma_f64 v[51:52], v[20:21], v[63:64], v[99:100]
	v_fma_f64 v[30:31], v[30:31], v[59:60], -v[61:62]
	v_fma_f64 v[53:54], v[22:23], v[63:64], -v[65:66]
	v_fma_f64 v[32:33], v[32:33], v[67:68], v[101:102]
	v_fma_f64 v[34:35], v[34:35], v[67:68], -v[69:70]
	v_fma_f64 v[55:56], v[24:25], v[71:72], v[103:104]
	;; [unrolled: 2-line block ×4, first 2 shown]
	v_fma_f64 v[18:19], v[46:47], v[79:80], -v[81:82]
	v_mov_b32_e32 v101, 0x210
	v_add_f64 v[67:68], v[12:13], v[40:41]
	v_add_f64 v[24:25], v[40:41], v[36:37]
	;; [unrolled: 1-line block ×3, first 2 shown]
	v_add_f64 v[69:70], v[42:43], -v[38:39]
	v_add_f64 v[42:43], v[14:15], v[42:43]
	v_add_f64 v[71:72], v[40:41], -v[36:37]
	v_add_f64 v[44:45], v[28:29], v[51:52]
	v_add_f64 v[79:80], v[0:1], v[28:29]
	v_add_f64 v[46:47], v[30:31], v[53:54]
	v_add_f64 v[40:41], v[8:9], v[32:33]
	v_add_f64 v[73:74], v[10:11], v[34:35]
	v_add_f64 v[59:60], v[32:33], v[55:56]
	v_add_f64 v[61:62], v[34:35], v[57:58]
	v_add_f64 v[81:82], v[30:31], -v[53:54]
	v_add_f64 v[83:84], v[2:3], v[30:31]
	v_add_f64 v[63:64], v[20:21], v[16:17]
	;; [unrolled: 1-line block ×3, first 2 shown]
	v_add_f64 v[85:86], v[28:29], -v[51:52]
	v_add_f64 v[97:98], v[34:35], -v[57:58]
	;; [unrolled: 1-line block ×3, first 2 shown]
	v_fma_f64 v[75:76], v[24:25], -0.5, v[12:13]
	v_fma_f64 v[77:78], v[26:27], -0.5, v[14:15]
	v_add_f64 v[12:13], v[22:23], -v[18:19]
	v_add_f64 v[14:15], v[20:21], -v[16:17]
	v_add_f64 v[26:27], v[42:43], v[38:39]
	v_fma_f64 v[0:1], v[44:45], -0.5, v[0:1]
	v_add_f64 v[24:25], v[67:68], v[36:37]
	v_fma_f64 v[2:3], v[46:47], -0.5, v[2:3]
	v_add_f64 v[28:29], v[40:41], v[55:56]
	v_add_f64 v[40:41], v[79:80], v[51:52]
	v_fma_f64 v[59:60], v[59:60], -0.5, v[8:9]
	v_fma_f64 v[61:62], v[61:62], -0.5, v[10:11]
	v_add_f64 v[30:31], v[73:74], v[57:58]
	v_add_f64 v[42:43], v[83:84], v[53:54]
	v_fma_f64 v[8:9], v[63:64], -0.5, v[4:5]
	v_fma_f64 v[10:11], v[65:66], -0.5, v[6:7]
	v_mul_u32_u24_e32 v63, 0x210, v87
	v_lshlrev_b32_sdwa v65, v91, v110 dst_sel:DWORD dst_unused:UNUSED_PAD src0_sel:DWORD src1_sel:WORD_0
	v_mul_u32_u24_sdwa v66, v95, v101 dst_sel:DWORD dst_unused:UNUSED_PAD src0_sel:WORD_0 src1_sel:DWORD
	v_lshlrev_b32_sdwa v67, v91, v111 dst_sel:DWORD dst_unused:UNUSED_PAD src0_sel:DWORD src1_sel:BYTE_0
	v_mul_u32_u24_e32 v64, 0x210, v109
	v_lshlrev_b32_sdwa v68, v91, v112 dst_sel:DWORD dst_unused:UNUSED_PAD src0_sel:DWORD src1_sel:WORD_0
	v_fma_f64 v[32:33], v[69:70], s[6:7], v[75:76]
	v_fma_f64 v[34:35], v[71:72], s[4:5], v[77:78]
	;; [unrolled: 1-line block ×4, first 2 shown]
	v_add3_u32 v63, 0, v63, v65
	v_fma_f64 v[44:45], v[81:82], s[6:7], v[0:1]
	v_fma_f64 v[51:52], v[81:82], s[4:5], v[0:1]
	;; [unrolled: 1-line block ×4, first 2 shown]
	v_add3_u32 v65, 0, v66, v67
	v_fma_f64 v[55:56], v[97:98], s[6:7], v[59:60]
	v_fma_f64 v[57:58], v[99:100], s[4:5], v[61:62]
	;; [unrolled: 1-line block ×6, first 2 shown]
	v_add3_u32 v64, 0, v64, v68
	ds_write_b128 v65, v[40:43]
	ds_write_b128 v65, v[44:47] offset:176
	ds_write_b128 v65, v[51:54] offset:352
	ds_write_b128 v63, v[24:27]
	ds_write_b128 v63, v[32:35] offset:176
	ds_write_b128 v63, v[36:39] offset:352
	;; [unrolled: 3-line block ×3, first 2 shown]
	s_and_saveexec_b32 s1, s0
	s_cbranch_execz .LBB0_25
; %bb.24:
	v_mul_f64 v[14:15], v[14:15], s[4:5]
	v_add_f64 v[22:23], v[6:7], v[22:23]
	v_add_f64 v[4:5], v[4:5], v[20:21]
	v_mul_f64 v[20:21], v[12:13], s[4:5]
	v_add_f64 v[6:7], v[14:15], v[10:11]
	v_add_f64 v[12:13], v[22:23], v[18:19]
	;; [unrolled: 1-line block ×3, first 2 shown]
	v_add_f64 v[4:5], v[8:9], -v[20:21]
	v_mul_lo_u16 v8, v48, 33
	v_lshlrev_b32_sdwa v9, v91, v50 dst_sel:DWORD dst_unused:UNUSED_PAD src0_sel:DWORD src1_sel:WORD_0
	v_lshlrev_b32_sdwa v8, v91, v8 dst_sel:DWORD dst_unused:UNUSED_PAD src0_sel:DWORD src1_sel:WORD_0
	v_add3_u32 v8, 0, v9, v8
	ds_write_b128 v8, v[10:13]
	ds_write_b128 v8, v[4:7] offset:176
	ds_write_b128 v8, v[0:3] offset:352
.LBB0_25:
	s_or_b32 exec_lo, exec_lo, s1
	v_mul_lo_u16 v4, 0xf9, v49
	v_mov_b32_e32 v5, 10
	s_waitcnt lgkmcnt(0)
	s_barrier
	buffer_gl0_inv
	v_lshrrev_b16 v95, 13, v4
	s_mov_b32 s0, 0xf8bb580b
	s_mov_b32 s6, 0x8764f0ba
	;; [unrolled: 1-line block ×4, first 2 shown]
	v_mul_lo_u16 v4, v95, 33
	s_mov_b32 s8, 0x8eee2c13
	s_mov_b32 s16, 0xd9c712b6
	;; [unrolled: 1-line block ×4, first 2 shown]
	v_sub_nc_u16 v97, v90, v4
	s_mov_b32 s18, 0x43842ef
	s_mov_b32 s19, 0xbfefac9e
	s_mov_b32 s24, 0xbb3a28a1
	s_mov_b32 s28, 0x7f775887
	v_mul_u32_u24_sdwa v4, v97, v5 dst_sel:DWORD dst_unused:UNUSED_PAD src0_sel:BYTE_0 src1_sel:DWORD
	s_mov_b32 s25, 0xbfe82f19
	s_mov_b32 s29, 0xbfe4f49e
	;; [unrolled: 1-line block ×4, first 2 shown]
	v_lshlrev_b32_e32 v4, 4, v4
	s_mov_b32 s31, 0xbfd207e7
	s_mov_b32 s37, 0xbfeeb42a
	;; [unrolled: 1-line block ×4, first 2 shown]
	s_clause 0x9
	global_load_dwordx4 v[8:11], v4, s[12:13] offset:352
	global_load_dwordx4 v[12:15], v4, s[12:13] offset:496
	;; [unrolled: 1-line block ×10, first 2 shown]
	ds_read_b128 v[4:7], v96
	ds_read_b128 v[76:79], v96 offset:2112
	ds_read_b128 v[68:71], v96 offset:4224
	;; [unrolled: 1-line block ×10, first 2 shown]
	s_mov_b32 s15, 0x3fed1bb4
	s_mov_b32 s14, s8
	;; [unrolled: 1-line block ×7, first 2 shown]
	v_mov_b32_e32 v248, 0x16b0
	s_waitcnt vmcnt(0) lgkmcnt(0)
	s_barrier
	buffer_gl0_inv
	v_mul_f64 v[98:99], v[78:79], v[10:11]
	v_mul_f64 v[10:11], v[76:77], v[10:11]
	;; [unrolled: 1-line block ×20, first 2 shown]
	v_fma_f64 v[76:77], v[76:77], v[8:9], v[98:99]
	v_fma_f64 v[8:9], v[78:79], v[8:9], -v[10:11]
	v_fma_f64 v[78:79], v[86:87], v[12:13], -v[100:101]
	;; [unrolled: 1-line block ×4, first 2 shown]
	v_fma_f64 v[24:25], v[68:69], v[24:25], v[26:27]
	v_fma_f64 v[68:69], v[84:85], v[12:13], v[14:15]
	;; [unrolled: 1-line block ×3, first 2 shown]
	v_fma_f64 v[26:27], v[66:67], v[40:41], -v[42:43]
	v_fma_f64 v[40:41], v[72:73], v[32:33], v[108:109]
	v_fma_f64 v[32:33], v[74:75], v[32:33], -v[34:35]
	v_fma_f64 v[34:35], v[56:57], v[20:21], v[110:111]
	v_fma_f64 v[20:21], v[58:59], v[20:21], -v[22:23]
	v_fma_f64 v[22:23], v[62:63], v[36:37], -v[112:113]
	v_fma_f64 v[36:37], v[60:61], v[36:37], v[38:39]
	v_fma_f64 v[38:39], v[52:53], v[28:29], v[114:115]
	v_fma_f64 v[28:29], v[54:55], v[28:29], -v[30:31]
	v_fma_f64 v[30:31], v[50:51], v[16:17], -v[116:117]
	v_fma_f64 v[16:17], v[48:49], v[16:17], v[18:19]
	v_fma_f64 v[14:15], v[80:81], v[44:45], v[46:47]
	v_add_f64 v[18:19], v[4:5], v[76:77]
	v_add_f64 v[42:43], v[6:7], v[8:9]
	v_add_f64 v[44:45], v[8:9], -v[78:79]
	v_add_f64 v[8:9], v[8:9], v[78:79]
	v_add_f64 v[46:47], v[10:11], -v[70:71]
	v_add_f64 v[48:49], v[10:11], v[70:71]
	v_add_f64 v[50:51], v[76:77], v[68:69]
	v_add_f64 v[52:53], v[76:77], -v[68:69]
	v_add_f64 v[58:59], v[12:13], v[40:41]
	v_add_f64 v[62:63], v[12:13], -v[40:41]
	;; [unrolled: 2-line block ×3, first 2 shown]
	v_add_f64 v[66:67], v[20:21], -v[22:23]
	v_add_f64 v[74:75], v[20:21], v[22:23]
	v_add_f64 v[72:73], v[34:35], v[36:37]
	v_add_f64 v[76:77], v[34:35], -v[36:37]
	v_add_f64 v[80:81], v[28:29], -v[30:31]
	v_add_f64 v[84:85], v[28:29], v[30:31]
	v_add_f64 v[54:55], v[24:25], v[14:15]
	v_add_f64 v[56:57], v[24:25], -v[14:15]
	v_add_f64 v[82:83], v[38:39], v[16:17]
	v_add_f64 v[18:19], v[18:19], v[24:25]
	;; [unrolled: 1-line block ×3, first 2 shown]
	v_mul_f64 v[24:25], v[44:45], s[0:1]
	v_mul_f64 v[42:43], v[8:9], s[6:7]
	v_mul_f64 v[98:99], v[44:45], s[8:9]
	v_mul_f64 v[100:101], v[8:9], s[16:17]
	v_mul_f64 v[102:103], v[44:45], s[18:19]
	v_mul_f64 v[104:105], v[8:9], s[22:23]
	v_mul_f64 v[106:107], v[44:45], s[24:25]
	v_mul_f64 v[108:109], v[8:9], s[28:29]
	v_mul_f64 v[44:45], v[44:45], s[30:31]
	v_mul_f64 v[8:9], v[8:9], s[36:37]
	v_mul_f64 v[110:111], v[46:47], s[8:9]
	v_mul_f64 v[112:113], v[48:49], s[16:17]
	v_mul_f64 v[114:115], v[46:47], s[24:25]
	v_mul_f64 v[116:117], v[48:49], s[28:29]
	v_add_f64 v[86:87], v[38:39], -v[16:17]
	v_mul_f64 v[118:119], v[46:47], s[34:35]
	v_mul_f64 v[120:121], v[48:49], s[36:37]
	;; [unrolled: 1-line block ×5, first 2 shown]
	v_add_f64 v[12:13], v[18:19], v[12:13]
	v_add_f64 v[10:11], v[10:11], v[26:27]
	v_fma_f64 v[18:19], v[50:51], s[6:7], v[24:25]
	v_fma_f64 v[26:27], v[52:53], s[4:5], v[42:43]
	v_fma_f64 v[24:25], v[50:51], s[6:7], -v[24:25]
	v_fma_f64 v[42:43], v[52:53], s[0:1], v[42:43]
	v_fma_f64 v[174:175], v[50:51], s[16:17], v[98:99]
	;; [unrolled: 1-line block ×3, first 2 shown]
	v_mul_f64 v[48:49], v[48:49], s[6:7]
	v_mul_f64 v[126:127], v[64:65], s[18:19]
	v_mul_f64 v[128:129], v[60:61], s[22:23]
	v_mul_f64 v[130:131], v[64:65], s[34:35]
	v_mul_f64 v[132:133], v[60:61], s[36:37]
	v_mul_f64 v[134:135], v[64:65], s[14:15]
	v_mul_f64 v[136:137], v[60:61], s[16:17]
	v_mul_f64 v[138:139], v[64:65], s[0:1]
	v_mul_f64 v[140:141], v[60:61], s[6:7]
	v_mul_f64 v[64:65], v[64:65], s[24:25]
	v_mul_f64 v[60:61], v[60:61], s[28:29]
	v_mul_f64 v[142:143], v[66:67], s[24:25]
	v_mul_f64 v[144:145], v[66:67], s[20:21]
	v_mul_f64 v[146:147], v[66:67], s[0:1]
	v_add_f64 v[12:13], v[12:13], v[34:35]
	v_add_f64 v[10:11], v[10:11], v[20:21]
	v_mul_f64 v[148:149], v[66:67], s[30:31]
	v_mul_f64 v[66:67], v[66:67], s[14:15]
	;; [unrolled: 1-line block ×17, first 2 shown]
	v_fma_f64 v[98:99], v[50:51], s[16:17], -v[98:99]
	v_fma_f64 v[178:179], v[50:51], s[22:23], v[102:103]
	v_fma_f64 v[180:181], v[52:53], s[20:21], v[104:105]
	v_fma_f64 v[102:103], v[50:51], s[22:23], -v[102:103]
	v_fma_f64 v[182:183], v[50:51], s[28:29], v[106:107]
	v_fma_f64 v[184:185], v[52:53], s[26:27], v[108:109]
	;; [unrolled: 3-line block ×4, first 2 shown]
	v_fma_f64 v[104:105], v[52:53], s[18:19], v[104:105]
	v_fma_f64 v[100:101], v[52:53], s[8:9], v[100:101]
	v_add_f64 v[12:13], v[12:13], v[38:39]
	v_add_f64 v[10:11], v[10:11], v[28:29]
	v_fma_f64 v[50:51], v[54:55], s[16:17], v[110:111]
	v_fma_f64 v[52:53], v[56:57], s[14:15], v[112:113]
	v_add_f64 v[18:19], v[4:5], v[18:19]
	v_add_f64 v[26:27], v[6:7], v[26:27]
	v_fma_f64 v[110:111], v[54:55], s[16:17], -v[110:111]
	v_fma_f64 v[112:113], v[56:57], s[8:9], v[112:113]
	v_fma_f64 v[190:191], v[54:55], s[28:29], v[114:115]
	;; [unrolled: 1-line block ×3, first 2 shown]
	v_add_f64 v[24:25], v[4:5], v[24:25]
	v_add_f64 v[28:29], v[6:7], v[42:43]
	;; [unrolled: 1-line block ×4, first 2 shown]
	v_fma_f64 v[114:115], v[54:55], s[28:29], -v[114:115]
	v_fma_f64 v[116:117], v[56:57], s[24:25], v[116:117]
	v_fma_f64 v[194:195], v[54:55], s[36:37], v[118:119]
	v_fma_f64 v[196:197], v[56:57], s[30:31], v[120:121]
	v_fma_f64 v[118:119], v[54:55], s[36:37], -v[118:119]
	v_fma_f64 v[120:121], v[56:57], s[34:35], v[120:121]
	v_fma_f64 v[198:199], v[54:55], s[22:23], v[122:123]
	v_fma_f64 v[200:201], v[56:57], s[18:19], v[124:125]
	v_fma_f64 v[122:123], v[54:55], s[22:23], -v[122:123]
	v_fma_f64 v[124:125], v[56:57], s[20:21], v[124:125]
	v_fma_f64 v[202:203], v[54:55], s[6:7], v[46:47]
	v_fma_f64 v[204:205], v[56:57], s[0:1], v[48:49]
	v_fma_f64 v[46:47], v[54:55], s[6:7], -v[46:47]
	v_fma_f64 v[48:49], v[56:57], s[4:5], v[48:49]
	v_fma_f64 v[54:55], v[58:59], s[22:23], v[126:127]
	v_fma_f64 v[56:57], v[62:63], s[20:21], v[128:129]
	v_fma_f64 v[126:127], v[58:59], s[22:23], -v[126:127]
	v_fma_f64 v[128:129], v[62:63], s[18:19], v[128:129]
	v_fma_f64 v[206:207], v[58:59], s[36:37], v[130:131]
	v_fma_f64 v[208:209], v[62:63], s[30:31], v[132:133]
	v_fma_f64 v[130:131], v[58:59], s[36:37], -v[130:131]
	v_fma_f64 v[132:133], v[62:63], s[34:35], v[132:133]
	v_fma_f64 v[210:211], v[58:59], s[16:17], v[134:135]
	v_fma_f64 v[134:135], v[58:59], s[16:17], -v[134:135]
	v_fma_f64 v[212:213], v[58:59], s[6:7], v[138:139]
	v_fma_f64 v[138:139], v[58:59], s[6:7], -v[138:139]
	;; [unrolled: 2-line block ×3, first 2 shown]
	v_fma_f64 v[64:65], v[62:63], s[8:9], v[136:137]
	v_fma_f64 v[136:137], v[62:63], s[14:15], v[136:137]
	;; [unrolled: 1-line block ×7, first 2 shown]
	v_fma_f64 v[142:143], v[72:73], s[28:29], -v[142:143]
	v_fma_f64 v[220:221], v[72:73], s[22:23], v[144:145]
	v_fma_f64 v[144:145], v[72:73], s[22:23], -v[144:145]
	v_fma_f64 v[222:223], v[72:73], s[6:7], v[146:147]
	;; [unrolled: 2-line block ×5, first 2 shown]
	v_fma_f64 v[150:151], v[76:77], s[24:25], v[150:151]
	v_fma_f64 v[228:229], v[76:77], s[18:19], v[152:153]
	;; [unrolled: 1-line block ×10, first 2 shown]
	v_fma_f64 v[34:35], v[82:83], s[36:37], -v[158:159]
	v_fma_f64 v[76:77], v[82:83], s[6:7], v[160:161]
	v_fma_f64 v[158:159], v[82:83], s[6:7], -v[160:161]
	v_fma_f64 v[160:161], v[82:83], s[28:29], v[162:163]
	;; [unrolled: 2-line block ×5, first 2 shown]
	v_fma_f64 v[166:167], v[86:87], s[30:31], v[166:167]
	v_fma_f64 v[240:241], v[86:87], s[0:1], v[168:169]
	;; [unrolled: 1-line block ×9, first 2 shown]
	v_add_f64 v[86:87], v[4:5], v[98:99]
	v_add_f64 v[98:99], v[4:5], v[178:179]
	;; [unrolled: 1-line block ×104, first 2 shown]
	v_mul_u32_u24_sdwa v48, v95, v248 dst_sel:DWORD dst_unused:UNUSED_PAD src0_sel:WORD_0 src1_sel:DWORD
	v_lshlrev_b32_sdwa v49, v91, v97 dst_sel:DWORD dst_unused:UNUSED_PAD src0_sel:DWORD src1_sel:BYTE_0
	v_cmp_gt_u32_e64 s0, 0x63, v90
	v_add3_u32 v48, 0, v48, v49
	ds_write_b128 v48, v[16:19] offset:528
	ds_write_b128 v48, v[20:23] offset:1056
	;; [unrolled: 1-line block ×10, first 2 shown]
	ds_write_b128 v48, v[44:47]
	s_waitcnt lgkmcnt(0)
	s_barrier
	buffer_gl0_inv
	ds_read_b128 v[16:19], v96
	ds_read_b128 v[20:23], v96 offset:2112
	ds_read_b128 v[36:39], v96 offset:5808
	;; [unrolled: 1-line block ×7, first 2 shown]
	s_and_saveexec_b32 s1, s0
	s_cbranch_execz .LBB0_27
; %bb.26:
	ds_read_b128 v[4:7], v96 offset:4224
	ds_read_b128 v[8:11], v96 offset:10032
	;; [unrolled: 1-line block ×4, first 2 shown]
.LBB0_27:
	s_or_b32 exec_lo, exec_lo, s1
	v_mul_u32_u24_e32 v48, 3, v90
	v_lshlrev_b32_e32 v48, 4, v48
	v_add_co_u32 v58, s1, s12, v48
	v_add_co_ci_u32_e64 v59, null, s13, 0, s1
	v_add_co_u32 v56, s1, 0x1600, v58
	v_add_co_ci_u32_e64 v57, s1, 0, v59, s1
	v_add_co_u32 v48, s1, 0x1000, v58
	v_add_co_ci_u32_e64 v49, s1, 0, v59, s1
	;; [unrolled: 2-line block ×4, first 2 shown]
	s_clause 0x5
	global_load_dwordx4 v[48:51], v[48:49], off offset:1536
	global_load_dwordx4 v[52:55], v[56:57], off offset:16
	;; [unrolled: 1-line block ×6, first 2 shown]
	s_waitcnt vmcnt(0) lgkmcnt(0)
	s_barrier
	buffer_gl0_inv
	v_mul_f64 v[76:77], v[46:47], v[58:59]
	v_mul_f64 v[72:73], v[38:39], v[50:51]
	;; [unrolled: 1-line block ×12, first 2 shown]
	v_fma_f64 v[44:45], v[44:45], v[56:57], v[76:77]
	v_fma_f64 v[36:37], v[36:37], v[48:49], v[72:73]
	v_fma_f64 v[38:39], v[38:39], v[48:49], -v[50:51]
	v_fma_f64 v[40:41], v[40:41], v[52:53], v[74:75]
	v_fma_f64 v[42:43], v[42:43], v[52:53], -v[54:55]
	v_fma_f64 v[46:47], v[46:47], v[56:57], -v[58:59]
	v_fma_f64 v[24:25], v[24:25], v[60:61], v[78:79]
	v_fma_f64 v[26:27], v[26:27], v[60:61], -v[62:63]
	v_fma_f64 v[28:29], v[28:29], v[64:65], v[80:81]
	;; [unrolled: 2-line block ×3, first 2 shown]
	v_fma_f64 v[34:35], v[34:35], v[68:69], -v[70:71]
	v_add_f64 v[44:45], v[36:37], -v[44:45]
	v_add_f64 v[40:41], v[16:17], -v[40:41]
	;; [unrolled: 1-line block ×8, first 2 shown]
	v_fma_f64 v[32:33], v[36:37], 2.0, -v[44:45]
	v_fma_f64 v[16:17], v[16:17], 2.0, -v[40:41]
	;; [unrolled: 1-line block ×4, first 2 shown]
	v_add_f64 v[18:19], v[40:41], v[46:47]
	v_fma_f64 v[54:55], v[20:21], 2.0, -v[48:49]
	v_fma_f64 v[56:57], v[22:23], 2.0, -v[50:51]
	;; [unrolled: 1-line block ×4, first 2 shown]
	v_add_f64 v[20:21], v[42:43], -v[44:45]
	v_add_f64 v[22:23], v[48:49], v[30:31]
	v_add_f64 v[24:25], v[50:51], -v[28:29]
	v_add_f64 v[26:27], v[16:17], -v[32:33]
	;; [unrolled: 1-line block ×3, first 2 shown]
	v_fma_f64 v[34:35], v[40:41], 2.0, -v[18:19]
	v_add_f64 v[30:31], v[54:55], -v[36:37]
	v_add_f64 v[32:33], v[56:57], -v[38:39]
	v_fma_f64 v[36:37], v[42:43], 2.0, -v[20:21]
	v_fma_f64 v[38:39], v[48:49], 2.0, -v[22:23]
	;; [unrolled: 1-line block ×4, first 2 shown]
	v_mov_b32_e32 v17, 0
	v_fma_f64 v[44:45], v[52:53], 2.0, -v[28:29]
	v_fma_f64 v[46:47], v[54:55], 2.0, -v[30:31]
	;; [unrolled: 1-line block ×3, first 2 shown]
	ds_write_b128 v96, v[18:21] offset:17424
	ds_write_b128 v96, v[34:37] offset:5808
	ds_write_b128 v96, v[26:29] offset:11616
	ds_write_b128 v96, v[38:41] offset:7920
	ds_write_b128 v96, v[30:33] offset:13728
	ds_write_b128 v96, v[42:45]
	ds_write_b128 v96, v[46:49] offset:2112
	ds_write_b128 v96, v[22:25] offset:19536
	s_and_saveexec_b32 s1, s0
	s_cbranch_execz .LBB0_29
; %bb.28:
	v_add_nc_u32_e32 v16, 0xffffff9d, v90
	v_cndmask_b32_e64 v16, v16, v94, s0
	v_mul_i32_i24_e32 v16, 3, v16
	v_lshlrev_b64 v[16:17], 4, v[16:17]
	v_add_co_u32 v16, s0, s12, v16
	v_add_co_ci_u32_e64 v17, s0, s13, v17, s0
	v_add_co_u32 v24, s0, 0x1600, v16
	v_add_co_ci_u32_e64 v25, s0, 0, v17, s0
	;; [unrolled: 2-line block ×3, first 2 shown]
	s_clause 0x2
	global_load_dwordx4 v[16:19], v[24:25], off offset:16
	global_load_dwordx4 v[20:23], v[20:21], off offset:1536
	;; [unrolled: 1-line block ×3, first 2 shown]
	s_waitcnt vmcnt(2)
	v_mul_f64 v[28:29], v[12:13], v[18:19]
	s_waitcnt vmcnt(1)
	v_mul_f64 v[30:31], v[10:11], v[22:23]
	v_mul_f64 v[22:23], v[8:9], v[22:23]
	s_waitcnt vmcnt(0)
	v_mul_f64 v[32:33], v[0:1], v[26:27]
	v_mul_f64 v[18:19], v[14:15], v[18:19]
	;; [unrolled: 1-line block ×3, first 2 shown]
	v_fma_f64 v[14:15], v[14:15], v[16:17], -v[28:29]
	v_fma_f64 v[8:9], v[8:9], v[20:21], v[30:31]
	v_fma_f64 v[10:11], v[10:11], v[20:21], -v[22:23]
	v_fma_f64 v[2:3], v[2:3], v[24:25], -v[32:33]
	v_fma_f64 v[12:13], v[12:13], v[16:17], v[18:19]
	v_fma_f64 v[0:1], v[0:1], v[24:25], v[26:27]
	v_add_f64 v[14:15], v[6:7], -v[14:15]
	v_add_f64 v[16:17], v[10:11], -v[2:3]
	;; [unrolled: 1-line block ×4, first 2 shown]
	v_fma_f64 v[18:19], v[6:7], 2.0, -v[14:15]
	v_fma_f64 v[6:7], v[10:11], 2.0, -v[16:17]
	;; [unrolled: 1-line block ×4, first 2 shown]
	v_add_f64 v[2:3], v[14:15], -v[0:1]
	v_add_f64 v[0:1], v[12:13], v[16:17]
	v_add_f64 v[6:7], v[18:19], -v[6:7]
	v_add_f64 v[4:5], v[20:21], -v[4:5]
	v_fma_f64 v[10:11], v[14:15], 2.0, -v[2:3]
	v_fma_f64 v[8:9], v[12:13], 2.0, -v[0:1]
	;; [unrolled: 1-line block ×4, first 2 shown]
	ds_write_b128 v96, v[8:11] offset:10032
	ds_write_b128 v96, v[4:7] offset:15840
	;; [unrolled: 1-line block ×4, first 2 shown]
.LBB0_29:
	s_or_b32 exec_lo, exec_lo, s1
	s_waitcnt lgkmcnt(0)
	s_barrier
	buffer_gl0_inv
	s_and_saveexec_b32 s0, vcc_lo
	s_cbranch_execz .LBB0_31
; %bb.30:
	v_mul_lo_u32 v2, s3, v92
	v_mul_lo_u32 v3, s2, v93
	v_mad_u64_u32 v[0:1], null, s2, v92, 0
	v_lshl_add_u32 v28, v90, 4, 0
	v_mov_b32_e32 v91, 0
	v_lshlrev_b64 v[8:9], 4, v[88:89]
	v_add_nc_u32_e32 v12, 0x84, v90
	v_add_nc_u32_e32 v22, 0x294, v90
	;; [unrolled: 1-line block ×3, first 2 shown]
	v_add3_u32 v1, v1, v3, v2
	v_mov_b32_e32 v13, v91
	v_lshlrev_b64 v[14:15], 4, v[90:91]
	v_mov_b32_e32 v23, v91
	v_mov_b32_e32 v25, v91
	v_lshlrev_b64 v[10:11], 4, v[0:1]
	ds_read_b128 v[0:3], v28
	ds_read_b128 v[4:7], v28 offset:2112
	v_lshlrev_b64 v[22:23], 4, v[22:23]
	v_add_co_u32 v10, vcc_lo, s10, v10
	v_add_co_ci_u32_e32 v11, vcc_lo, s11, v11, vcc_lo
	v_add_co_u32 v30, vcc_lo, v10, v8
	v_add_co_ci_u32_e32 v31, vcc_lo, v11, v9, vcc_lo
	v_lshlrev_b64 v[8:9], 4, v[12:13]
	v_add_co_u32 v10, vcc_lo, v30, v14
	v_add_co_ci_u32_e32 v11, vcc_lo, v31, v15, vcc_lo
	v_add_nc_u32_e32 v12, 0x108, v90
	v_add_co_u32 v8, vcc_lo, v30, v8
	v_add_co_ci_u32_e32 v9, vcc_lo, v31, v9, vcc_lo
	s_waitcnt lgkmcnt(1)
	global_store_dwordx4 v[10:11], v[0:3], off
	s_waitcnt lgkmcnt(0)
	global_store_dwordx4 v[8:9], v[4:7], off
	v_lshlrev_b64 v[0:1], 4, v[12:13]
	v_add_nc_u32_e32 v8, 0x18c, v90
	v_mov_b32_e32 v9, v91
	v_add_nc_u32_e32 v10, 0x210, v90
	v_mov_b32_e32 v11, v91
	v_add_co_u32 v16, vcc_lo, v30, v0
	v_add_co_ci_u32_e32 v17, vcc_lo, v31, v1, vcc_lo
	ds_read_b128 v[0:3], v28 offset:4224
	ds_read_b128 v[4:7], v28 offset:6336
	v_lshlrev_b64 v[18:19], 4, v[8:9]
	v_lshlrev_b64 v[20:21], 4, v[10:11]
	ds_read_b128 v[8:11], v28 offset:8448
	ds_read_b128 v[12:15], v28 offset:10560
	v_add_co_u32 v18, vcc_lo, v30, v18
	v_add_co_ci_u32_e32 v19, vcc_lo, v31, v19, vcc_lo
	v_add_co_u32 v20, vcc_lo, v30, v20
	v_add_co_ci_u32_e32 v21, vcc_lo, v31, v21, vcc_lo
	v_add_co_u32 v22, vcc_lo, v30, v22
	s_waitcnt lgkmcnt(3)
	global_store_dwordx4 v[16:17], v[0:3], off
	s_waitcnt lgkmcnt(2)
	global_store_dwordx4 v[18:19], v[4:7], off
	v_add_nc_u32_e32 v2, 0x39c, v90
	v_mov_b32_e32 v3, v91
	v_add_co_ci_u32_e32 v23, vcc_lo, v31, v23, vcc_lo
	v_lshlrev_b64 v[0:1], 4, v[24:25]
	s_waitcnt lgkmcnt(1)
	global_store_dwordx4 v[20:21], v[8:11], off
	s_waitcnt lgkmcnt(0)
	global_store_dwordx4 v[22:23], v[12:15], off
	v_lshlrev_b64 v[8:9], 4, v[2:3]
	v_add_nc_u32_e32 v10, 0x420, v90
	v_mov_b32_e32 v11, v91
	v_add_co_u32 v20, vcc_lo, v30, v0
	v_add_co_ci_u32_e32 v21, vcc_lo, v31, v1, vcc_lo
	v_add_co_u32 v22, vcc_lo, v30, v8
	ds_read_b128 v[0:3], v28 offset:12672
	ds_read_b128 v[4:7], v28 offset:14784
	v_add_co_ci_u32_e32 v23, vcc_lo, v31, v9, vcc_lo
	v_lshlrev_b64 v[26:27], 4, v[10:11]
	ds_read_b128 v[8:11], v28 offset:16896
	ds_read_b128 v[12:15], v28 offset:19008
	;; [unrolled: 1-line block ×3, first 2 shown]
	v_add_nc_u32_e32 v24, 0x4a4, v90
	v_add_nc_u32_e32 v90, 0x528, v90
	v_add_co_u32 v26, vcc_lo, v30, v26
	v_lshlrev_b64 v[24:25], 4, v[24:25]
	v_lshlrev_b64 v[28:29], 4, v[90:91]
	v_add_co_ci_u32_e32 v27, vcc_lo, v31, v27, vcc_lo
	v_add_co_u32 v24, vcc_lo, v30, v24
	v_add_co_ci_u32_e32 v25, vcc_lo, v31, v25, vcc_lo
	v_add_co_u32 v28, vcc_lo, v30, v28
	v_add_co_ci_u32_e32 v29, vcc_lo, v31, v29, vcc_lo
	s_waitcnt lgkmcnt(4)
	global_store_dwordx4 v[20:21], v[0:3], off
	s_waitcnt lgkmcnt(3)
	global_store_dwordx4 v[22:23], v[4:7], off
	;; [unrolled: 2-line block ×5, first 2 shown]
.LBB0_31:
	s_endpgm
	.section	.rodata,"a",@progbits
	.p2align	6, 0x0
	.amdhsa_kernel fft_rtc_back_len1452_factors_11_3_11_4_wgs_132_tpt_132_halfLds_dp_op_CI_CI_unitstride_sbrr_C2R_dirReg
		.amdhsa_group_segment_fixed_size 0
		.amdhsa_private_segment_fixed_size 0
		.amdhsa_kernarg_size 104
		.amdhsa_user_sgpr_count 6
		.amdhsa_user_sgpr_private_segment_buffer 1
		.amdhsa_user_sgpr_dispatch_ptr 0
		.amdhsa_user_sgpr_queue_ptr 0
		.amdhsa_user_sgpr_kernarg_segment_ptr 1
		.amdhsa_user_sgpr_dispatch_id 0
		.amdhsa_user_sgpr_flat_scratch_init 0
		.amdhsa_user_sgpr_private_segment_size 0
		.amdhsa_wavefront_size32 1
		.amdhsa_uses_dynamic_stack 0
		.amdhsa_system_sgpr_private_segment_wavefront_offset 0
		.amdhsa_system_sgpr_workgroup_id_x 1
		.amdhsa_system_sgpr_workgroup_id_y 0
		.amdhsa_system_sgpr_workgroup_id_z 0
		.amdhsa_system_sgpr_workgroup_info 0
		.amdhsa_system_vgpr_workitem_id 0
		.amdhsa_next_free_vgpr 249
		.amdhsa_next_free_sgpr 38
		.amdhsa_reserve_vcc 1
		.amdhsa_reserve_flat_scratch 0
		.amdhsa_float_round_mode_32 0
		.amdhsa_float_round_mode_16_64 0
		.amdhsa_float_denorm_mode_32 3
		.amdhsa_float_denorm_mode_16_64 3
		.amdhsa_dx10_clamp 1
		.amdhsa_ieee_mode 1
		.amdhsa_fp16_overflow 0
		.amdhsa_workgroup_processor_mode 1
		.amdhsa_memory_ordered 1
		.amdhsa_forward_progress 0
		.amdhsa_shared_vgpr_count 0
		.amdhsa_exception_fp_ieee_invalid_op 0
		.amdhsa_exception_fp_denorm_src 0
		.amdhsa_exception_fp_ieee_div_zero 0
		.amdhsa_exception_fp_ieee_overflow 0
		.amdhsa_exception_fp_ieee_underflow 0
		.amdhsa_exception_fp_ieee_inexact 0
		.amdhsa_exception_int_div_zero 0
	.end_amdhsa_kernel
	.text
.Lfunc_end0:
	.size	fft_rtc_back_len1452_factors_11_3_11_4_wgs_132_tpt_132_halfLds_dp_op_CI_CI_unitstride_sbrr_C2R_dirReg, .Lfunc_end0-fft_rtc_back_len1452_factors_11_3_11_4_wgs_132_tpt_132_halfLds_dp_op_CI_CI_unitstride_sbrr_C2R_dirReg
                                        ; -- End function
	.section	.AMDGPU.csdata,"",@progbits
; Kernel info:
; codeLenInByte = 12352
; NumSgprs: 40
; NumVgprs: 249
; ScratchSize: 0
; MemoryBound: 0
; FloatMode: 240
; IeeeMode: 1
; LDSByteSize: 0 bytes/workgroup (compile time only)
; SGPRBlocks: 4
; VGPRBlocks: 31
; NumSGPRsForWavesPerEU: 40
; NumVGPRsForWavesPerEU: 249
; Occupancy: 4
; WaveLimiterHint : 1
; COMPUTE_PGM_RSRC2:SCRATCH_EN: 0
; COMPUTE_PGM_RSRC2:USER_SGPR: 6
; COMPUTE_PGM_RSRC2:TRAP_HANDLER: 0
; COMPUTE_PGM_RSRC2:TGID_X_EN: 1
; COMPUTE_PGM_RSRC2:TGID_Y_EN: 0
; COMPUTE_PGM_RSRC2:TGID_Z_EN: 0
; COMPUTE_PGM_RSRC2:TIDIG_COMP_CNT: 0
	.text
	.p2alignl 6, 3214868480
	.fill 48, 4, 3214868480
	.type	__hip_cuid_b845b50b7a3c43b8,@object ; @__hip_cuid_b845b50b7a3c43b8
	.section	.bss,"aw",@nobits
	.globl	__hip_cuid_b845b50b7a3c43b8
__hip_cuid_b845b50b7a3c43b8:
	.byte	0                               ; 0x0
	.size	__hip_cuid_b845b50b7a3c43b8, 1

	.ident	"AMD clang version 19.0.0git (https://github.com/RadeonOpenCompute/llvm-project roc-6.4.0 25133 c7fe45cf4b819c5991fe208aaa96edf142730f1d)"
	.section	".note.GNU-stack","",@progbits
	.addrsig
	.addrsig_sym __hip_cuid_b845b50b7a3c43b8
	.amdgpu_metadata
---
amdhsa.kernels:
  - .args:
      - .actual_access:  read_only
        .address_space:  global
        .offset:         0
        .size:           8
        .value_kind:     global_buffer
      - .offset:         8
        .size:           8
        .value_kind:     by_value
      - .actual_access:  read_only
        .address_space:  global
        .offset:         16
        .size:           8
        .value_kind:     global_buffer
      - .actual_access:  read_only
        .address_space:  global
        .offset:         24
        .size:           8
        .value_kind:     global_buffer
      - .actual_access:  read_only
        .address_space:  global
        .offset:         32
        .size:           8
        .value_kind:     global_buffer
      - .offset:         40
        .size:           8
        .value_kind:     by_value
      - .actual_access:  read_only
        .address_space:  global
        .offset:         48
        .size:           8
        .value_kind:     global_buffer
      - .actual_access:  read_only
        .address_space:  global
        .offset:         56
        .size:           8
        .value_kind:     global_buffer
      - .offset:         64
        .size:           4
        .value_kind:     by_value
      - .actual_access:  read_only
        .address_space:  global
        .offset:         72
        .size:           8
        .value_kind:     global_buffer
      - .actual_access:  read_only
        .address_space:  global
        .offset:         80
        .size:           8
        .value_kind:     global_buffer
      - .actual_access:  read_only
        .address_space:  global
        .offset:         88
        .size:           8
        .value_kind:     global_buffer
      - .actual_access:  write_only
        .address_space:  global
        .offset:         96
        .size:           8
        .value_kind:     global_buffer
    .group_segment_fixed_size: 0
    .kernarg_segment_align: 8
    .kernarg_segment_size: 104
    .language:       OpenCL C
    .language_version:
      - 2
      - 0
    .max_flat_workgroup_size: 132
    .name:           fft_rtc_back_len1452_factors_11_3_11_4_wgs_132_tpt_132_halfLds_dp_op_CI_CI_unitstride_sbrr_C2R_dirReg
    .private_segment_fixed_size: 0
    .sgpr_count:     40
    .sgpr_spill_count: 0
    .symbol:         fft_rtc_back_len1452_factors_11_3_11_4_wgs_132_tpt_132_halfLds_dp_op_CI_CI_unitstride_sbrr_C2R_dirReg.kd
    .uniform_work_group_size: 1
    .uses_dynamic_stack: false
    .vgpr_count:     249
    .vgpr_spill_count: 0
    .wavefront_size: 32
    .workgroup_processor_mode: 1
amdhsa.target:   amdgcn-amd-amdhsa--gfx1030
amdhsa.version:
  - 1
  - 2
...

	.end_amdgpu_metadata
